;; amdgpu-corpus repo=llvm/llvm-project kind=harvested arch=n/a opt=n/a
// NOTE: Assertions have been autogenerated by utils/update_mc_test_checks.py UTC_ARGS: --unique --sort --version 6
// RUN: not llvm-mc -triple=amdgcn -mcpu=gfx1011 %s -filetype=null 2>&1 | FileCheck --check-prefixes=GFX1011,GFX10 --implicit-check-not=error: %s
// RUN: not llvm-mc -triple=amdgcn -mcpu=gfx1012 %s -filetype=null 2>&1 | FileCheck --check-prefixes=GFX1212,GFX10 --implicit-check-not=error: %s

image_bvh64_intersect_ray v[4:7], v[9:24], s[4:7]
// GFX1011: :[[@LINE-1]]:1: error: instruction not supported on this GPU (gfx1011): image_bvh64_intersect_ray
// GFX1212: :[[@LINE-2]]:1: error: instruction not supported on this GPU (gfx1012): image_bvh64_intersect_ray

image_bvh64_intersect_ray v[4:7], v[9:24], s[4:7] a16
// GFX1011: :[[@LINE-1]]:1: error: instruction not supported on this GPU (gfx1011): image_bvh64_intersect_ray
// GFX1212: :[[@LINE-2]]:1: error: instruction not supported on this GPU (gfx1012): image_bvh64_intersect_ray

image_bvh_intersect_ray v[4:7], v[9:16], s[4:7] a16
// GFX1011: :[[@LINE-1]]:1: error: instruction not supported on this GPU (gfx1011): image_bvh_intersect_ray
// GFX1212: :[[@LINE-2]]:1: error: instruction not supported on this GPU (gfx1012): image_bvh_intersect_ray

image_bvh_intersect_ray v[4:7], v[9:24], s[4:7]
// GFX1011: :[[@LINE-1]]:1: error: instruction not supported on this GPU (gfx1011): image_bvh_intersect_ray
// GFX1212: :[[@LINE-2]]:1: error: instruction not supported on this GPU (gfx1012): image_bvh_intersect_ray

image_msaa_load v14, [v204,v11,v14,v19], s[40:47] dmask:0x1 dim:SQ_RSRC_IMG_2D_MSAA_ARRAY
// GFX1011: :[[@LINE-1]]:1: error: instruction not supported on this GPU (gfx1011): image_msaa_load
// GFX1212: :[[@LINE-2]]:1: error: instruction not supported on this GPU (gfx1012): image_msaa_load

image_msaa_load v5, v[1:2], s[8:15] dmask:0x1 dim:SQ_RSRC_IMG_2D d16
// GFX1011: :[[@LINE-1]]:1: error: instruction not supported on this GPU (gfx1011): image_msaa_load
// GFX1212: :[[@LINE-2]]:1: error: instruction not supported on this GPU (gfx1012): image_msaa_load

image_msaa_load v[1:4], v5, s[8:15] dmask:0xf dim:SQ_RSRC_IMG_1D
// GFX1011: :[[@LINE-1]]:1: error: instruction not supported on this GPU (gfx1011): image_msaa_load
// GFX1212: :[[@LINE-2]]:1: error: instruction not supported on this GPU (gfx1012): image_msaa_load

image_msaa_load v[1:4], v5, s[8:15] dmask:0xf dim:SQ_RSRC_IMG_1D glc
// GFX1011: :[[@LINE-1]]:1: error: instruction not supported on this GPU (gfx1011): image_msaa_load
// GFX1212: :[[@LINE-2]]:1: error: instruction not supported on this GPU (gfx1012): image_msaa_load

s_getreg_b32 s2, hwreg(HW_REG_SHADER_CYCLES)
// GFX10: :[[@LINE-1]]:24: error: invalid hardware register: not supported on this GPU

v_dot8c_i32_i4 v5, v1, v2
// GFX1011: :[[@LINE-1]]:1: error: instruction not supported on this GPU (gfx1011): v_dot8c_i32_i4
// GFX1212: :[[@LINE-2]]:1: error: instruction not supported on this GPU (gfx1012): v_dot8c_i32_i4

v_dot8c_i32_i4 v5, v1, v2 dpp8:[7,6,5,4,3,2,1,0]
// GFX1011: :[[@LINE-1]]:1: error: instruction not supported on this GPU (gfx1011): v_dot8c_i32_i4
// GFX1212: :[[@LINE-2]]:1: error: instruction not supported on this GPU (gfx1012): v_dot8c_i32_i4

v_dot8c_i32_i4 v5, v1, v2 dpp8:[7,6,5,4,3,2,1,0] fi:1
// GFX1011: :[[@LINE-1]]:1: error: instruction not supported on this GPU (gfx1011): v_dot8c_i32_i4
// GFX1212: :[[@LINE-2]]:1: error: instruction not supported on this GPU (gfx1012): v_dot8c_i32_i4

v_dot8c_i32_i4 v5, v1, v2 quad_perm:[0,1,2,3] row_mask:0x0 bank_mask:0x0
// GFX1011: :[[@LINE-1]]:1: error: instruction not supported on this GPU (gfx1011): v_dot8c_i32_i4
// GFX1212: :[[@LINE-2]]:1: error: instruction not supported on this GPU (gfx1012): v_dot8c_i32_i4

v_dot8c_i32_i4 v5, v1, v2 quad_perm:[0,1,2,3] row_mask:0x0 bank_mask:0x0 fi:1
// GFX1011: :[[@LINE-1]]:1: error: instruction not supported on this GPU (gfx1011): v_dot8c_i32_i4
// GFX1212: :[[@LINE-2]]:1: error: instruction not supported on this GPU (gfx1012): v_dot8c_i32_i4

v_fma_legacy_f32 v0, v1, v2, v3
// GFX1011: :[[@LINE-1]]:1: error: instruction not supported on this GPU (gfx1011): v_fma_legacy_f32
// GFX1212: :[[@LINE-2]]:1: error: instruction not supported on this GPU (gfx1012): v_fma_legacy_f32

v_fmac_legacy_f32 v0, v1, v2
// GFX1011: :[[@LINE-1]]:1: error: instruction not supported on this GPU (gfx1011): v_fmac_legacy_f32
// GFX1212: :[[@LINE-2]]:1: error: instruction not supported on this GPU (gfx1012): v_fmac_legacy_f32
